;; amdgpu-corpus repo=ROCm/rocFFT kind=compiled arch=gfx906 opt=O3
	.text
	.amdgcn_target "amdgcn-amd-amdhsa--gfx906"
	.amdhsa_code_object_version 6
	.protected	fft_rtc_back_len34_factors_17_2_wgs_255_tpt_17_halfLds_sp_op_CI_CI_unitstride_sbrr_R2C_dirReg ; -- Begin function fft_rtc_back_len34_factors_17_2_wgs_255_tpt_17_halfLds_sp_op_CI_CI_unitstride_sbrr_R2C_dirReg
	.globl	fft_rtc_back_len34_factors_17_2_wgs_255_tpt_17_halfLds_sp_op_CI_CI_unitstride_sbrr_R2C_dirReg
	.p2align	8
	.type	fft_rtc_back_len34_factors_17_2_wgs_255_tpt_17_halfLds_sp_op_CI_CI_unitstride_sbrr_R2C_dirReg,@function
fft_rtc_back_len34_factors_17_2_wgs_255_tpt_17_halfLds_sp_op_CI_CI_unitstride_sbrr_R2C_dirReg: ; @fft_rtc_back_len34_factors_17_2_wgs_255_tpt_17_halfLds_sp_op_CI_CI_unitstride_sbrr_R2C_dirReg
; %bb.0:
	s_load_dwordx4 s[8:11], s[4:5], 0x58
	s_load_dwordx4 s[12:15], s[4:5], 0x0
	;; [unrolled: 1-line block ×3, first 2 shown]
	v_mul_u32_u24_e32 v1, 0xf10, v0
	v_lshrrev_b32_e32 v1, 16, v1
	v_mad_u64_u32 v[3:4], s[0:1], s6, 15, v[1:2]
	v_mov_b32_e32 v5, 0
	v_mov_b32_e32 v1, 0
	;; [unrolled: 1-line block ×3, first 2 shown]
	s_waitcnt lgkmcnt(0)
	v_cmp_lt_u64_e64 s[0:1], s[14:15], 2
	v_mov_b32_e32 v2, 0
	v_mov_b32_e32 v33, v2
	;; [unrolled: 1-line block ×3, first 2 shown]
	s_and_b64 vcc, exec, s[0:1]
	v_mov_b32_e32 v32, v1
	v_mov_b32_e32 v34, v3
	s_cbranch_vccnz .LBB0_8
; %bb.1:
	s_load_dwordx2 s[0:1], s[4:5], 0x10
	s_add_u32 s2, s18, 8
	s_addc_u32 s3, s19, 0
	s_add_u32 s6, s16, 8
	v_mov_b32_e32 v1, 0
	s_addc_u32 s7, s17, 0
	v_mov_b32_e32 v2, 0
	s_waitcnt lgkmcnt(0)
	s_add_u32 s20, s0, 8
	v_mov_b32_e32 v33, v2
	v_mov_b32_e32 v8, v4
	s_addc_u32 s21, s1, 0
	s_mov_b64 s[22:23], 1
	v_mov_b32_e32 v32, v1
	v_mov_b32_e32 v7, v3
.LBB0_2:                                ; =>This Inner Loop Header: Depth=1
	s_load_dwordx2 s[24:25], s[20:21], 0x0
                                        ; implicit-def: $vgpr34_vgpr35
	s_waitcnt lgkmcnt(0)
	v_or_b32_e32 v6, s25, v8
	v_cmp_ne_u64_e32 vcc, 0, v[5:6]
	s_and_saveexec_b64 s[0:1], vcc
	s_xor_b64 s[26:27], exec, s[0:1]
	s_cbranch_execz .LBB0_4
; %bb.3:                                ;   in Loop: Header=BB0_2 Depth=1
	v_cvt_f32_u32_e32 v4, s24
	v_cvt_f32_u32_e32 v6, s25
	s_sub_u32 s0, 0, s24
	s_subb_u32 s1, 0, s25
	v_mac_f32_e32 v4, 0x4f800000, v6
	v_rcp_f32_e32 v4, v4
	v_mul_f32_e32 v4, 0x5f7ffffc, v4
	v_mul_f32_e32 v6, 0x2f800000, v4
	v_trunc_f32_e32 v6, v6
	v_mac_f32_e32 v4, 0xcf800000, v6
	v_cvt_u32_f32_e32 v6, v6
	v_cvt_u32_f32_e32 v4, v4
	v_mul_lo_u32 v9, s0, v6
	v_mul_hi_u32 v10, s0, v4
	v_mul_lo_u32 v12, s1, v4
	v_mul_lo_u32 v11, s0, v4
	v_add_u32_e32 v9, v10, v9
	v_add_u32_e32 v9, v9, v12
	v_mul_hi_u32 v10, v4, v11
	v_mul_lo_u32 v12, v4, v9
	v_mul_hi_u32 v14, v4, v9
	v_mul_hi_u32 v13, v6, v11
	v_mul_lo_u32 v11, v6, v11
	v_mul_hi_u32 v15, v6, v9
	v_add_co_u32_e32 v10, vcc, v10, v12
	v_addc_co_u32_e32 v12, vcc, 0, v14, vcc
	v_mul_lo_u32 v9, v6, v9
	v_add_co_u32_e32 v10, vcc, v10, v11
	v_addc_co_u32_e32 v10, vcc, v12, v13, vcc
	v_addc_co_u32_e32 v11, vcc, 0, v15, vcc
	v_add_co_u32_e32 v9, vcc, v10, v9
	v_addc_co_u32_e32 v10, vcc, 0, v11, vcc
	v_add_co_u32_e32 v4, vcc, v4, v9
	v_addc_co_u32_e32 v6, vcc, v6, v10, vcc
	v_mul_lo_u32 v9, s0, v6
	v_mul_hi_u32 v10, s0, v4
	v_mul_lo_u32 v11, s1, v4
	v_mul_lo_u32 v12, s0, v4
	v_add_u32_e32 v9, v10, v9
	v_add_u32_e32 v9, v9, v11
	v_mul_lo_u32 v13, v4, v9
	v_mul_hi_u32 v14, v4, v12
	v_mul_hi_u32 v15, v4, v9
	;; [unrolled: 1-line block ×3, first 2 shown]
	v_mul_lo_u32 v12, v6, v12
	v_mul_hi_u32 v10, v6, v9
	v_add_co_u32_e32 v13, vcc, v14, v13
	v_addc_co_u32_e32 v14, vcc, 0, v15, vcc
	v_mul_lo_u32 v9, v6, v9
	v_add_co_u32_e32 v12, vcc, v13, v12
	v_addc_co_u32_e32 v11, vcc, v14, v11, vcc
	v_addc_co_u32_e32 v10, vcc, 0, v10, vcc
	v_add_co_u32_e32 v9, vcc, v11, v9
	v_addc_co_u32_e32 v10, vcc, 0, v10, vcc
	v_add_co_u32_e32 v4, vcc, v4, v9
	v_addc_co_u32_e32 v6, vcc, v6, v10, vcc
	v_mad_u64_u32 v[9:10], s[0:1], v7, v6, 0
	v_mul_hi_u32 v11, v7, v4
	v_add_co_u32_e32 v13, vcc, v11, v9
	v_addc_co_u32_e32 v14, vcc, 0, v10, vcc
	v_mad_u64_u32 v[9:10], s[0:1], v8, v4, 0
	v_mad_u64_u32 v[11:12], s[0:1], v8, v6, 0
	v_add_co_u32_e32 v4, vcc, v13, v9
	v_addc_co_u32_e32 v4, vcc, v14, v10, vcc
	v_addc_co_u32_e32 v6, vcc, 0, v12, vcc
	v_add_co_u32_e32 v4, vcc, v4, v11
	v_addc_co_u32_e32 v6, vcc, 0, v6, vcc
	v_mul_lo_u32 v11, s25, v4
	v_mul_lo_u32 v12, s24, v6
	v_mad_u64_u32 v[9:10], s[0:1], s24, v4, 0
	v_add3_u32 v10, v10, v12, v11
	v_sub_u32_e32 v11, v8, v10
	v_mov_b32_e32 v12, s25
	v_sub_co_u32_e32 v9, vcc, v7, v9
	v_subb_co_u32_e64 v11, s[0:1], v11, v12, vcc
	v_subrev_co_u32_e64 v12, s[0:1], s24, v9
	v_subbrev_co_u32_e64 v11, s[0:1], 0, v11, s[0:1]
	v_cmp_le_u32_e64 s[0:1], s25, v11
	v_cndmask_b32_e64 v13, 0, -1, s[0:1]
	v_cmp_le_u32_e64 s[0:1], s24, v12
	v_cndmask_b32_e64 v12, 0, -1, s[0:1]
	v_cmp_eq_u32_e64 s[0:1], s25, v11
	v_cndmask_b32_e64 v11, v13, v12, s[0:1]
	v_add_co_u32_e64 v12, s[0:1], 2, v4
	v_addc_co_u32_e64 v13, s[0:1], 0, v6, s[0:1]
	v_add_co_u32_e64 v14, s[0:1], 1, v4
	v_addc_co_u32_e64 v15, s[0:1], 0, v6, s[0:1]
	v_subb_co_u32_e32 v10, vcc, v8, v10, vcc
	v_cmp_ne_u32_e64 s[0:1], 0, v11
	v_cmp_le_u32_e32 vcc, s25, v10
	v_cndmask_b32_e64 v11, v15, v13, s[0:1]
	v_cndmask_b32_e64 v13, 0, -1, vcc
	v_cmp_le_u32_e32 vcc, s24, v9
	v_cndmask_b32_e64 v9, 0, -1, vcc
	v_cmp_eq_u32_e32 vcc, s25, v10
	v_cndmask_b32_e32 v9, v13, v9, vcc
	v_cmp_ne_u32_e32 vcc, 0, v9
	v_cndmask_b32_e32 v35, v6, v11, vcc
	v_cndmask_b32_e64 v6, v14, v12, s[0:1]
	v_cndmask_b32_e32 v34, v4, v6, vcc
.LBB0_4:                                ;   in Loop: Header=BB0_2 Depth=1
	s_andn2_saveexec_b64 s[0:1], s[26:27]
	s_cbranch_execz .LBB0_6
; %bb.5:                                ;   in Loop: Header=BB0_2 Depth=1
	v_cvt_f32_u32_e32 v4, s24
	s_sub_i32 s26, 0, s24
	v_mov_b32_e32 v35, v5
	v_rcp_iflag_f32_e32 v4, v4
	v_mul_f32_e32 v4, 0x4f7ffffe, v4
	v_cvt_u32_f32_e32 v4, v4
	v_mul_lo_u32 v6, s26, v4
	v_mul_hi_u32 v6, v4, v6
	v_add_u32_e32 v4, v4, v6
	v_mul_hi_u32 v4, v7, v4
	v_mul_lo_u32 v6, v4, s24
	v_add_u32_e32 v9, 1, v4
	v_sub_u32_e32 v6, v7, v6
	v_subrev_u32_e32 v10, s24, v6
	v_cmp_le_u32_e32 vcc, s24, v6
	v_cndmask_b32_e32 v6, v6, v10, vcc
	v_cndmask_b32_e32 v4, v4, v9, vcc
	v_add_u32_e32 v9, 1, v4
	v_cmp_le_u32_e32 vcc, s24, v6
	v_cndmask_b32_e32 v34, v4, v9, vcc
.LBB0_6:                                ;   in Loop: Header=BB0_2 Depth=1
	s_or_b64 exec, exec, s[0:1]
	v_mul_lo_u32 v4, v35, s24
	v_mul_lo_u32 v6, v34, s25
	v_mad_u64_u32 v[9:10], s[0:1], v34, s24, 0
	s_load_dwordx2 s[0:1], s[6:7], 0x0
	s_load_dwordx2 s[24:25], s[2:3], 0x0
	v_add3_u32 v4, v10, v6, v4
	v_sub_co_u32_e32 v6, vcc, v7, v9
	v_subb_co_u32_e32 v4, vcc, v8, v4, vcc
	s_waitcnt lgkmcnt(0)
	v_mul_lo_u32 v7, s0, v4
	v_mul_lo_u32 v8, s1, v6
	v_mad_u64_u32 v[1:2], s[0:1], s0, v6, v[1:2]
	s_add_u32 s22, s22, 1
	s_addc_u32 s23, s23, 0
	s_add_u32 s2, s2, 8
	v_mul_lo_u32 v4, s24, v4
	v_mul_lo_u32 v9, s25, v6
	v_mad_u64_u32 v[32:33], s[0:1], s24, v6, v[32:33]
	v_add3_u32 v2, v8, v2, v7
	s_addc_u32 s3, s3, 0
	v_mov_b32_e32 v6, s14
	s_add_u32 s6, s6, 8
	v_mov_b32_e32 v7, s15
	s_addc_u32 s7, s7, 0
	v_cmp_ge_u64_e32 vcc, s[22:23], v[6:7]
	s_add_u32 s20, s20, 8
	v_add3_u32 v33, v9, v33, v4
	s_addc_u32 s21, s21, 0
	s_cbranch_vccnz .LBB0_8
; %bb.7:                                ;   in Loop: Header=BB0_2 Depth=1
	v_mov_b32_e32 v7, v34
	v_mov_b32_e32 v8, v35
	s_branch .LBB0_2
.LBB0_8:
	s_mov_b32 s0, 0x88888889
	v_mul_hi_u32 v4, v3, s0
	s_load_dwordx2 s[0:1], s[4:5], 0x28
	s_lshl_b64 s[6:7], s[14:15], 3
	s_add_u32 s2, s18, s6
	v_lshrrev_b32_e32 v4, 3, v4
	v_mul_lo_u32 v4, v4, 15
	s_waitcnt lgkmcnt(0)
	v_cmp_gt_u64_e32 vcc, s[0:1], v[34:35]
	v_cmp_le_u64_e64 s[0:1], s[0:1], v[34:35]
	s_addc_u32 s3, s19, s7
	v_sub_u32_e32 v3, v3, v4
                                        ; implicit-def: $vgpr36
	s_and_saveexec_b64 s[4:5], s[0:1]
	s_xor_b64 s[0:1], exec, s[4:5]
; %bb.9:
	s_mov_b32 s4, 0xf0f0f10
	v_mul_hi_u32 v1, v0, s4
	v_mul_u32_u24_e32 v1, 17, v1
	v_sub_u32_e32 v36, v0, v1
                                        ; implicit-def: $vgpr0
                                        ; implicit-def: $vgpr1_vgpr2
; %bb.10:
	s_or_saveexec_b64 s[4:5], s[0:1]
	v_mul_u32_u24_e32 v3, 35, v3
	v_lshlrev_b32_e32 v43, 3, v3
	s_xor_b64 exec, exec, s[4:5]
	s_cbranch_execz .LBB0_12
; %bb.11:
	s_add_u32 s0, s16, s6
	s_addc_u32 s1, s17, s7
	s_load_dwordx2 s[0:1], s[0:1], 0x0
	s_mov_b32 s6, 0xf0f0f10
	v_mul_hi_u32 v5, v0, s6
	s_waitcnt lgkmcnt(0)
	v_mul_lo_u32 v6, s1, v34
	v_mul_lo_u32 v7, s0, v35
	v_mad_u64_u32 v[3:4], s[0:1], s0, v34, 0
	v_mul_u32_u24_e32 v5, 17, v5
	v_sub_u32_e32 v36, v0, v5
	v_add3_u32 v4, v4, v7, v6
	v_lshlrev_b64 v[3:4], 3, v[3:4]
	v_mov_b32_e32 v0, s9
	v_add_co_u32_e64 v3, s[0:1], s8, v3
	v_addc_co_u32_e64 v4, s[0:1], v0, v4, s[0:1]
	v_lshlrev_b64 v[0:1], 3, v[1:2]
	v_lshlrev_b32_e32 v6, 3, v36
	v_add_co_u32_e64 v0, s[0:1], v3, v0
	v_addc_co_u32_e64 v1, s[0:1], v4, v1, s[0:1]
	v_add_co_u32_e64 v0, s[0:1], v0, v6
	v_addc_co_u32_e64 v1, s[0:1], 0, v1, s[0:1]
	global_load_dwordx2 v[2:3], v[0:1], off
	global_load_dwordx2 v[4:5], v[0:1], off offset:136
	v_add3_u32 v0, 0, v43, v6
	s_waitcnt vmcnt(0)
	ds_write2_b64 v0, v[2:3], v[4:5] offset1:17
.LBB0_12:
	s_or_b64 exec, exec, s[4:5]
	v_add_u32_e32 v39, 0, v43
	v_lshlrev_b32_e32 v41, 3, v36
	v_add_u32_e32 v40, v39, v41
	v_add3_u32 v42, 0, v41, v43
	s_waitcnt lgkmcnt(0)
	s_barrier
	ds_read_b64 v[37:38], v40
	ds_read2_b64 v[0:3], v42 offset0:2 offset1:4
	ds_read2_b64 v[4:7], v42 offset0:6 offset1:8
	;; [unrolled: 1-line block ×8, first 2 shown]
	v_cmp_gt_u32_e64 s[0:1], 2, v36
	s_waitcnt lgkmcnt(0)
	s_barrier
	s_and_saveexec_b64 s[4:5], s[0:1]
	s_cbranch_execz .LBB0_14
; %bb.13:
	v_add_f32_e32 v49, v38, v1
	v_add_f32_e32 v49, v49, v3
	;; [unrolled: 1-line block ×14, first 2 shown]
	v_sub_f32_e32 v44, v28, v26
	v_add_f32_e32 v46, v26, v28
	v_add_f32_e32 v28, v49, v28
	;; [unrolled: 1-line block ×5, first 2 shown]
	v_sub_f32_e32 v49, v29, v27
	v_sub_f32_e32 v29, v31, v25
	v_add_f32_e32 v25, v50, v25
	v_sub_f32_e32 v45, v30, v24
	v_add_f32_e32 v28, v24, v30
	v_add_f32_e32 v50, v25, v27
	v_add_f32_e32 v24, v51, v24
	v_add_f32_e32 v31, v23, v17
	v_add_f32_e32 v51, v24, v26
	v_sub_f32_e32 v30, v17, v23
	v_add_f32_e32 v17, v50, v21
	v_add_f32_e32 v54, v21, v19
	v_sub_f32_e32 v27, v19, v21
	v_add_f32_e32 v21, v17, v23
	v_add_f32_e32 v17, v51, v20
	;; [unrolled: 1-line block ×3, first 2 shown]
	v_sub_f32_e32 v25, v16, v22
	v_add_f32_e32 v24, v22, v16
	v_add_f32_e32 v22, v17, v22
	v_sub_f32_e32 v19, v4, v14
	v_add_f32_e32 v17, v14, v4
	v_add_f32_e32 v4, v21, v13
	;; [unrolled: 1-line block ×3, first 2 shown]
	v_mul_f32_e32 v21, 0xbf7ba420, v58
	v_sub_f32_e32 v26, v18, v20
	v_add_f32_e32 v16, v20, v18
	v_add_f32_e32 v55, v15, v5
	;; [unrolled: 1-line block ×3, first 2 shown]
	v_sub_f32_e32 v20, v6, v12
	v_sub_f32_e32 v56, v5, v15
	v_add_f32_e32 v18, v12, v6
	v_sub_f32_e32 v57, v7, v13
	v_add_f32_e32 v4, v4, v15
	v_add_f32_e32 v5, v22, v12
	v_sub_f32_e32 v15, v0, v10
	v_sub_f32_e32 v13, v2, v8
	v_add_f32_e32 v12, v8, v2
	v_mov_b32_e32 v2, v21
	v_mul_f32_e32 v22, 0x3f6eb680, v59
	v_sub_f32_e32 v61, v3, v9
	v_fmac_f32_e32 v2, 0x3e3c28d5, v15
	v_mov_b32_e32 v3, v22
	v_add_f32_e32 v2, v38, v2
	v_fmac_f32_e32 v3, 0xbeb8f4ab, v13
	v_mul_f32_e32 v62, 0xbf59a7d5, v55
	v_add_f32_e32 v2, v3, v2
	v_mov_b32_e32 v3, v62
	v_fmac_f32_e32 v3, 0x3f06c442, v19
	v_mul_f32_e32 v63, 0x3f3d2fb0, v23
	v_add_f32_e32 v2, v3, v2
	v_mov_b32_e32 v3, v63
	;; [unrolled: 4-line block ×4, first 2 shown]
	v_fmac_f32_e32 v3, 0xbf65296c, v26
	v_mul_f32_e32 v66, 0xbe8c1d8e, v48
	v_sub_f32_e32 v60, v1, v11
	v_add_f32_e32 v2, v3, v2
	v_mov_b32_e32 v3, v66
	v_fmac_f32_e32 v3, 0x3f763a35, v44
	v_mul_f32_e32 v67, 0xbe3c28d5, v60
	v_add_f32_e32 v5, v5, v14
	v_add_f32_e32 v14, v10, v0
	;; [unrolled: 1-line block ×3, first 2 shown]
	v_mov_b32_e32 v3, v67
	v_mul_f32_e32 v68, 0x3eb8f4ab, v61
	v_add_f32_e32 v0, v4, v9
	v_fmac_f32_e32 v3, 0xbf7ba420, v14
	v_mov_b32_e32 v4, v68
	v_add_f32_e32 v3, v37, v3
	v_fmac_f32_e32 v4, 0x3f6eb680, v12
	v_mul_f32_e32 v69, 0xbf06c442, v56
	v_add_f32_e32 v3, v4, v3
	v_mov_b32_e32 v4, v69
	v_fmac_f32_e32 v4, 0xbf59a7d5, v17
	v_mul_f32_e32 v70, 0x3f2c7751, v57
	v_add_f32_e32 v3, v4, v3
	v_mov_b32_e32 v4, v70
	;; [unrolled: 4-line block ×8, first 2 shown]
	v_mul_f32_e32 v77, 0x3ee437d1, v59
	v_add_f32_e32 v1, v0, v11
	v_add_f32_e32 v0, v5, v8
	v_fmac_f32_e32 v4, 0x3f06c442, v15
	v_mov_b32_e32 v5, v77
	v_add_f32_e32 v4, v38, v4
	v_fmac_f32_e32 v5, 0xbf65296c, v13
	v_mul_f32_e32 v78, 0x3dbcf732, v55
	v_add_f32_e32 v4, v5, v4
	v_mov_b32_e32 v5, v78
	v_fmac_f32_e32 v5, 0x3f7ee86f, v19
	v_mul_f32_e32 v79, 0xbf1a4643, v23
	v_add_f32_e32 v4, v5, v4
	v_mov_b32_e32 v5, v79
	;; [unrolled: 4-line block ×6, first 2 shown]
	v_mul_f32_e32 v84, 0x3f65296c, v61
	v_fmac_f32_e32 v5, 0xbf59a7d5, v14
	v_mov_b32_e32 v6, v84
	v_add_f32_e32 v5, v37, v5
	v_fmac_f32_e32 v6, 0x3ee437d1, v12
	v_mul_f32_e32 v85, 0xbf7ee86f, v56
	v_add_f32_e32 v5, v6, v5
	v_mov_b32_e32 v6, v85
	v_fmac_f32_e32 v6, 0x3dbcf732, v17
	v_mul_f32_e32 v86, 0x3f4c4adb, v57
	v_add_f32_e32 v5, v6, v5
	v_mov_b32_e32 v6, v86
	;; [unrolled: 4-line block ×8, first 2 shown]
	v_mul_f32_e32 v93, 0xbe8c1d8e, v59
	v_fmac_f32_e32 v6, 0x3f4c4adb, v15
	v_mov_b32_e32 v7, v93
	v_add_f32_e32 v6, v38, v6
	v_fmac_f32_e32 v7, 0xbf763a35, v13
	v_mul_f32_e32 v94, 0x3f6eb680, v55
	v_add_f32_e32 v6, v7, v6
	v_mov_b32_e32 v7, v94
	v_fmac_f32_e32 v7, 0x3eb8f4ab, v19
	v_mul_f32_e32 v95, 0xbf59a7d5, v23
	v_add_f32_e32 v6, v7, v6
	v_mov_b32_e32 v7, v95
	v_fmac_f32_e32 v7, 0x3f06c442, v20
	v_mul_f32_e32 v96, 0x3dbcf732, v31
	v_add_f32_e32 v6, v7, v6
	v_mov_b32_e32 v7, v96
	v_fmac_f32_e32 v7, 0xbf7ee86f, v25
	v_mul_f32_e32 v97, 0x3f3d2fb0, v54
	v_add_f32_e32 v6, v7, v6
	v_mov_b32_e32 v7, v97
	v_fmac_f32_e32 v7, 0x3f2c7751, v26
	v_mul_f32_e32 v98, 0xbf7ba420, v48
	v_add_f32_e32 v6, v7, v6
	v_mov_b32_e32 v7, v98
	v_fmac_f32_e32 v7, 0x3e3c28d5, v44
	v_mul_f32_e32 v99, 0xbf4c4adb, v60
	v_add_f32_e32 v6, v7, v6
	v_mov_b32_e32 v7, v99
	v_mul_f32_e32 v100, 0x3f763a35, v61
	v_fmac_f32_e32 v7, 0xbf1a4643, v14
	v_mov_b32_e32 v8, v100
	v_add_f32_e32 v7, v37, v7
	v_fmac_f32_e32 v8, 0xbe8c1d8e, v12
	v_mul_f32_e32 v101, 0xbeb8f4ab, v56
	v_add_f32_e32 v7, v8, v7
	v_mov_b32_e32 v8, v101
	v_fmac_f32_e32 v8, 0x3f6eb680, v17
	v_mul_f32_e32 v102, 0xbf06c442, v57
	v_add_f32_e32 v7, v8, v7
	v_mov_b32_e32 v8, v102
	;; [unrolled: 4-line block ×8, first 2 shown]
	v_mul_f32_e32 v109, 0xbf59a7d5, v59
	v_fmac_f32_e32 v8, 0x3f763a35, v15
	v_mov_b32_e32 v9, v109
	v_add_f32_e32 v8, v38, v8
	v_fmac_f32_e32 v9, 0xbf06c442, v13
	v_mul_f32_e32 v110, 0x3f3d2fb0, v55
	v_add_f32_e32 v8, v9, v8
	v_mov_b32_e32 v9, v110
	v_fmac_f32_e32 v9, 0xbf2c7751, v19
	v_mul_f32_e32 v111, 0x3ee437d1, v23
	v_add_f32_e32 v8, v9, v8
	v_mov_b32_e32 v9, v111
	;; [unrolled: 4-line block ×6, first 2 shown]
	v_mul_f32_e32 v116, 0x3f06c442, v61
	v_add_f32_e32 v0, v0, v10
	v_fmac_f32_e32 v9, 0xbe8c1d8e, v14
	v_mov_b32_e32 v10, v116
	v_add_f32_e32 v9, v37, v9
	v_fmac_f32_e32 v10, 0xbf59a7d5, v12
	v_mul_f32_e32 v117, 0x3f2c7751, v56
	v_add_f32_e32 v9, v10, v9
	v_mov_b32_e32 v10, v117
	v_fmac_f32_e32 v10, 0x3f3d2fb0, v17
	v_mul_f32_e32 v118, 0xbf65296c, v57
	v_add_f32_e32 v9, v10, v9
	v_mov_b32_e32 v10, v118
	v_fmac_f32_e32 v10, 0x3ee437d1, v18
	v_mul_f32_e32 v119, 0xbe3c28d5, v30
	v_add_f32_e32 v9, v10, v9
	v_mov_b32_e32 v10, v119
	v_fmac_f32_e32 v10, 0xbf7ba420, v24
	v_mul_f32_e32 v120, 0x3f7ee86f, v27
	v_add_f32_e32 v9, v10, v9
	v_mov_b32_e32 v10, v120
	v_fmac_f32_e32 v10, 0x3dbcf732, v16
	v_mul_f32_e32 v121, 0xbeb8f4ab, v49
	v_add_f32_e32 v9, v10, v9
	v_mov_b32_e32 v10, v121
	v_fmac_f32_e32 v10, 0x3f6eb680, v46
	v_mul_f32_e32 v122, 0xbf1a4643, v47
	v_add_f32_e32 v10, v10, v9
	v_mov_b32_e32 v9, v122
	v_fmac_f32_e32 v9, 0x3f4c4adb, v45
	v_mul_f32_e32 v123, 0xbf4c4adb, v29
	v_add_f32_e32 v9, v9, v8
	v_mov_b32_e32 v8, v123
	v_fmac_f32_e32 v8, 0xbf1a4643, v28
	v_mul_f32_e32 v124, 0x3dbcf732, v58
	v_add_f32_e32 v8, v8, v10
	v_mov_b32_e32 v10, v124
	v_mul_f32_e32 v125, 0xbf7ba420, v59
	v_fmac_f32_e32 v10, 0x3f7ee86f, v15
	v_mov_b32_e32 v11, v125
	v_add_f32_e32 v10, v38, v10
	v_fmac_f32_e32 v11, 0x3e3c28d5, v13
	v_mul_f32_e32 v126, 0xbe8c1d8e, v55
	v_add_f32_e32 v10, v11, v10
	v_mov_b32_e32 v11, v126
	v_fmac_f32_e32 v11, 0xbf763a35, v19
	v_mul_f32_e32 v127, 0x3f6eb680, v23
	v_add_f32_e32 v10, v11, v10
	v_mov_b32_e32 v11, v127
	v_fmac_f32_e32 v11, 0xbeb8f4ab, v20
	v_mul_f32_e32 v128, 0x3ee437d1, v31
	v_add_f32_e32 v10, v11, v10
	v_mov_b32_e32 v11, v128
	v_fmac_f32_e32 v11, 0x3f65296c, v25
	v_mul_f32_e32 v129, 0xbf59a7d5, v54
	v_add_f32_e32 v10, v11, v10
	v_mov_b32_e32 v11, v129
	v_fmac_f32_e32 v11, 0x3f06c442, v26
	v_mul_f32_e32 v130, 0xbf1a4643, v48
	v_add_f32_e32 v10, v11, v10
	v_mov_b32_e32 v11, v130
	v_fmac_f32_e32 v11, 0xbf4c4adb, v44
	v_mul_f32_e32 v131, 0xbf7ee86f, v60
	v_add_f32_e32 v10, v11, v10
	v_mov_b32_e32 v11, v131
	v_mul_f32_e32 v132, 0xbe3c28d5, v61
	v_fmac_f32_e32 v11, 0x3dbcf732, v14
	v_mov_b32_e32 v50, v132
	v_add_f32_e32 v11, v37, v11
	v_fmac_f32_e32 v50, 0xbf7ba420, v12
	v_mul_f32_e32 v133, 0x3f763a35, v56
	v_add_f32_e32 v11, v50, v11
	v_mov_b32_e32 v50, v133
	v_fmac_f32_e32 v50, 0xbe8c1d8e, v17
	v_mul_f32_e32 v134, 0x3eb8f4ab, v57
	v_add_f32_e32 v11, v50, v11
	v_mov_b32_e32 v50, v134
	v_fmac_f32_e32 v50, 0x3f6eb680, v18
	v_mul_f32_e32 v135, 0xbf65296c, v30
	v_add_f32_e32 v11, v50, v11
	v_mov_b32_e32 v50, v135
	v_fmac_f32_e32 v50, 0x3ee437d1, v24
	v_mul_f32_e32 v136, 0xbf06c442, v27
	v_add_f32_e32 v11, v50, v11
	v_mov_b32_e32 v50, v136
	v_fmac_f32_e32 v50, 0xbf59a7d5, v16
	v_mul_f32_e32 v137, 0x3f4c4adb, v49
	v_add_f32_e32 v11, v50, v11
	v_mov_b32_e32 v50, v137
	v_fmac_f32_e32 v50, 0xbf1a4643, v46
	v_mul_f32_e32 v138, 0x3f3d2fb0, v47
	v_add_f32_e32 v50, v50, v11
	v_mov_b32_e32 v11, v138
	v_fmac_f32_e32 v11, 0xbf2c7751, v45
	v_mul_f32_e32 v139, 0x3f2c7751, v29
	v_add_f32_e32 v11, v11, v10
	v_mov_b32_e32 v10, v139
	v_fmac_f32_e32 v10, 0x3f3d2fb0, v28
	v_mul_f32_e32 v140, 0x3ee437d1, v58
	v_add_f32_e32 v10, v10, v50
	v_mov_b32_e32 v50, v140
	v_mul_f32_e32 v141, 0xbf1a4643, v59
	v_fmac_f32_e32 v50, 0x3f65296c, v15
	v_mov_b32_e32 v51, v141
	v_add_f32_e32 v50, v38, v50
	v_fmac_f32_e32 v51, 0x3f4c4adb, v13
	v_mul_f32_e32 v142, 0xbf7ba420, v55
	v_add_f32_e32 v50, v51, v50
	v_mov_b32_e32 v51, v142
	v_fmac_f32_e32 v51, 0xbe3c28d5, v19
	v_mul_f32_e32 v143, 0xbe8c1d8e, v23
	v_add_f32_e32 v50, v51, v50
	v_mov_b32_e32 v51, v143
	v_fmac_f32_e32 v51, 0xbf763a35, v20
	v_mul_f32_e32 v144, 0x3f3d2fb0, v31
	v_add_f32_e32 v50, v51, v50
	v_mov_b32_e32 v51, v144
	v_fmac_f32_e32 v51, 0xbf2c7751, v25
	v_mul_f32_e32 v145, 0x3f6eb680, v54
	v_add_f32_e32 v50, v51, v50
	v_mov_b32_e32 v51, v145
	v_fmac_f32_e32 v51, 0x3eb8f4ab, v26
	v_mul_f32_e32 v146, 0x3dbcf732, v48
	v_add_f32_e32 v50, v51, v50
	v_mov_b32_e32 v51, v146
	v_fmac_f32_e32 v51, 0x3f7ee86f, v44
	v_mul_f32_e32 v147, 0xbf65296c, v60
	v_add_f32_e32 v50, v51, v50
	v_mov_b32_e32 v51, v147
	v_mul_f32_e32 v148, 0xbf4c4adb, v61
	v_fmac_f32_e32 v51, 0x3ee437d1, v14
	v_mov_b32_e32 v52, v148
	v_add_f32_e32 v51, v37, v51
	v_fmac_f32_e32 v52, 0xbf1a4643, v12
	v_mul_f32_e32 v149, 0x3e3c28d5, v56
	v_add_f32_e32 v51, v52, v51
	v_mov_b32_e32 v52, v149
	v_fmac_f32_e32 v52, 0xbf7ba420, v17
	v_mul_f32_e32 v150, 0x3f763a35, v57
	v_add_f32_e32 v51, v52, v51
	v_mov_b32_e32 v52, v150
	v_fmac_f32_e32 v52, 0xbe8c1d8e, v18
	v_mul_f32_e32 v151, 0x3f2c7751, v30
	v_add_f32_e32 v51, v52, v51
	v_mov_b32_e32 v52, v151
	v_fmac_f32_e32 v52, 0x3f3d2fb0, v24
	v_mul_f32_e32 v152, 0xbeb8f4ab, v27
	v_add_f32_e32 v51, v52, v51
	v_mov_b32_e32 v52, v152
	v_fmac_f32_e32 v52, 0x3f6eb680, v16
	v_mul_f32_e32 v153, 0xbf7ee86f, v49
	v_add_f32_e32 v51, v52, v51
	v_mov_b32_e32 v52, v153
	v_fmac_f32_e32 v52, 0x3dbcf732, v46
	v_mul_f32_e32 v154, 0xbf59a7d5, v47
	v_add_f32_e32 v52, v52, v51
	v_mov_b32_e32 v51, v154
	v_fmac_f32_e32 v51, 0x3f06c442, v45
	v_mul_f32_e32 v155, 0xbf06c442, v29
	v_add_f32_e32 v51, v51, v50
	v_mov_b32_e32 v50, v155
	v_fmac_f32_e32 v50, 0xbf59a7d5, v28
	v_mul_f32_e32 v156, 0x3f3d2fb0, v58
	v_add_f32_e32 v50, v50, v52
	v_mov_b32_e32 v52, v156
	v_mul_f32_e32 v157, 0x3dbcf732, v59
	v_fmac_f32_e32 v52, 0x3f2c7751, v15
	v_mov_b32_e32 v53, v157
	v_add_f32_e32 v52, v38, v52
	v_fmac_f32_e32 v53, 0x3f7ee86f, v13
	v_mul_f32_e32 v158, 0xbf1a4643, v55
	v_add_f32_e32 v52, v53, v52
	v_mov_b32_e32 v53, v158
	v_fmac_f32_e32 v53, 0x3f4c4adb, v19
	v_mul_f32_e32 v159, 0xbf7ba420, v23
	v_add_f32_e32 v52, v53, v52
	v_mov_b32_e32 v53, v159
	v_fmac_f32_e32 v53, 0x3e3c28d5, v20
	v_mul_f32_e32 v160, 0xbf59a7d5, v31
	v_add_f32_e32 v52, v53, v52
	v_mov_b32_e32 v53, v160
	v_fmac_f32_e32 v53, 0xbf06c442, v25
	v_mul_f32_e32 v161, 0xbe8c1d8e, v54
	v_add_f32_e32 v52, v53, v52
	v_mov_b32_e32 v53, v161
	v_fmac_f32_e32 v53, 0xbf763a35, v26
	v_mul_f32_e32 v162, 0x3ee437d1, v48
	v_add_f32_e32 v52, v53, v52
	v_mov_b32_e32 v53, v162
	v_fmac_f32_e32 v53, 0xbf65296c, v44
	v_mul_f32_e32 v163, 0xbf2c7751, v60
	v_add_f32_e32 v52, v53, v52
	v_mov_b32_e32 v53, v163
	v_mul_f32_e32 v164, 0xbf7ee86f, v61
	v_fmac_f32_e32 v53, 0x3f3d2fb0, v14
	v_mov_b32_e32 v165, v164
	v_add_f32_e32 v53, v37, v53
	v_fmac_f32_e32 v165, 0x3dbcf732, v12
	v_add_f32_e32 v53, v165, v53
	v_mul_f32_e32 v165, 0xbf4c4adb, v56
	v_mov_b32_e32 v166, v165
	v_fmac_f32_e32 v166, 0xbf1a4643, v17
	v_add_f32_e32 v53, v166, v53
	v_mul_f32_e32 v166, 0xbe3c28d5, v57
	v_mov_b32_e32 v167, v166
	;; [unrolled: 4-line block ×5, first 2 shown]
	v_fmac_f32_e32 v170, 0x3ee437d1, v46
	v_mul_f32_e32 v171, 0x3f6eb680, v47
	v_add_f32_e32 v170, v170, v53
	v_mov_b32_e32 v53, v171
	v_fmac_f32_e32 v53, 0xbeb8f4ab, v45
	v_mul_f32_e32 v172, 0x3eb8f4ab, v29
	v_add_f32_e32 v53, v53, v52
	v_mov_b32_e32 v52, v172
	v_fmac_f32_e32 v52, 0x3f6eb680, v28
	v_add_f32_e32 v52, v52, v170
	v_mul_f32_e32 v170, 0x3f6eb680, v58
	v_mov_b32_e32 v58, v170
	v_mul_f32_e32 v173, 0x3f3d2fb0, v59
	v_fmac_f32_e32 v58, 0x3eb8f4ab, v15
	v_mov_b32_e32 v59, v173
	v_mul_f32_e32 v174, 0x3ee437d1, v55
	v_add_f32_e32 v58, v38, v58
	v_fmac_f32_e32 v59, 0x3f2c7751, v13
	v_mov_b32_e32 v55, v174
	v_add_f32_e32 v58, v59, v58
	v_fmac_f32_e32 v55, 0x3f65296c, v19
	v_mul_f32_e32 v23, 0x3dbcf732, v23
	v_add_f32_e32 v55, v55, v58
	v_mov_b32_e32 v58, v23
	v_fmac_f32_e32 v58, 0x3f7ee86f, v20
	v_mul_f32_e32 v31, 0xbe8c1d8e, v31
	v_add_f32_e32 v55, v58, v55
	v_mov_b32_e32 v58, v31
	v_mul_f32_e32 v175, 0xbf1a4643, v54
	v_fmac_f32_e32 v58, 0x3f763a35, v25
	v_mov_b32_e32 v54, v175
	v_mul_f32_e32 v176, 0xbf59a7d5, v48
	v_add_f32_e32 v55, v58, v55
	v_fmac_f32_e32 v54, 0x3f4c4adb, v26
	v_mov_b32_e32 v48, v176
	v_add_f32_e32 v54, v54, v55
	v_fmac_f32_e32 v48, 0x3f06c442, v44
	v_mul_f32_e32 v177, 0xbeb8f4ab, v60
	v_add_f32_e32 v48, v48, v54
	v_mov_b32_e32 v54, v177
	v_mul_f32_e32 v178, 0xbf2c7751, v61
	v_fmac_f32_e32 v54, 0x3f6eb680, v14
	v_mov_b32_e32 v55, v178
	v_add_f32_e32 v54, v37, v54
	v_fmac_f32_e32 v55, 0x3f3d2fb0, v12
	v_mul_f32_e32 v179, 0xbf65296c, v56
	v_add_f32_e32 v54, v55, v54
	v_mov_b32_e32 v55, v179
	v_fmac_f32_e32 v55, 0x3ee437d1, v17
	v_mul_f32_e32 v180, 0xbf7ee86f, v57
	v_fmac_f32_e32 v21, 0xbe3c28d5, v15
	v_add_f32_e32 v54, v55, v54
	v_mov_b32_e32 v55, v180
	v_mul_f32_e32 v181, 0xbf763a35, v30
	v_add_f32_e32 v21, v38, v21
	v_fmac_f32_e32 v22, 0x3eb8f4ab, v13
	s_mov_b32 s0, 0xbf7ba420
	v_fmac_f32_e32 v55, 0x3dbcf732, v18
	v_mov_b32_e32 v30, v181
	v_add_f32_e32 v21, v22, v21
	s_mov_b32 s14, 0x3f6eb680
	v_fma_f32 v22, v14, s0, -v67
	v_add_f32_e32 v54, v55, v54
	v_fmac_f32_e32 v30, 0xbe8c1d8e, v24
	v_mul_f32_e32 v27, 0xbf4c4adb, v27
	v_mul_f32_e32 v182, 0xbf7ba420, v47
	v_fmac_f32_e32 v62, 0xbf06c442, v19
	v_add_f32_e32 v22, v37, v22
	v_fma_f32 v47, v12, s14, -v68
	s_mov_b32 s1, 0xbf59a7d5
	v_add_f32_e32 v30, v30, v54
	v_mov_b32_e32 v54, v27
	v_add_f32_e32 v21, v62, v21
	v_fmac_f32_e32 v63, 0x3f2c7751, v20
	v_add_f32_e32 v22, v47, v22
	v_fma_f32 v47, v17, s1, -v69
	s_mov_b32 s7, 0x3f3d2fb0
	v_fmac_f32_e32 v54, 0xbf1a4643, v16
	v_mul_f32_e32 v49, 0xbf06c442, v49
	v_add_f32_e32 v21, v63, v21
	v_fmac_f32_e32 v64, 0xbf4c4adb, v25
	v_add_f32_e32 v22, v47, v22
	v_fma_f32 v47, v18, s7, -v70
	s_mov_b32 s6, 0xbf1a4643
	v_add_f32_e32 v30, v54, v30
	v_mov_b32_e32 v54, v49
	v_add_f32_e32 v21, v64, v21
	v_fmac_f32_e32 v65, 0x3f65296c, v26
	v_add_f32_e32 v22, v47, v22
	v_fma_f32 v47, v24, s6, -v71
	s_mov_b32 s9, 0x3ee437d1
	v_fmac_f32_e32 v54, 0xbf59a7d5, v46
	v_add_f32_e32 v21, v65, v21
	v_fmac_f32_e32 v66, 0xbf763a35, v44
	v_add_f32_e32 v22, v47, v22
	v_fma_f32 v47, v16, s9, -v72
	s_mov_b32 s8, 0xbe8c1d8e
	v_add_f32_e32 v54, v54, v30
	v_mov_b32_e32 v30, v182
	v_mul_f32_e32 v183, 0xbe3c28d5, v29
	v_add_f32_e32 v21, v66, v21
	v_add_f32_e32 v22, v47, v22
	v_fma_f32 v47, v46, s8, -v73
	s_mov_b32 s15, 0x3dbcf732
	v_fmac_f32_e32 v74, 0x3f7ee86f, v45
	v_fmac_f32_e32 v30, 0x3e3c28d5, v45
	v_mov_b32_e32 v29, v183
	v_add_f32_e32 v47, v47, v22
	v_add_f32_e32 v22, v74, v21
	v_fma_f32 v21, v28, s15, -v75
	v_fmac_f32_e32 v76, 0xbf06c442, v15
	v_add_f32_e32 v30, v30, v48
	v_fmac_f32_e32 v29, 0xbf7ba420, v28
	v_add_f32_e32 v21, v21, v47
	v_add_f32_e32 v47, v38, v76
	v_fmac_f32_e32 v77, 0x3f65296c, v13
	v_fma_f32 v48, v14, s1, -v83
	v_add_f32_e32 v29, v29, v54
	v_add_f32_e32 v47, v77, v47
	v_fmac_f32_e32 v78, 0xbf7ee86f, v19
	v_add_f32_e32 v48, v37, v48
	v_fma_f32 v54, v12, s9, -v84
	v_add_f32_e32 v47, v78, v47
	v_fmac_f32_e32 v79, 0x3f4c4adb, v20
	v_add_f32_e32 v48, v54, v48
	v_fma_f32 v54, v17, s15, -v85
	v_add_f32_e32 v47, v79, v47
	v_fmac_f32_e32 v80, 0xbeb8f4ab, v25
	v_add_f32_e32 v48, v54, v48
	v_fma_f32 v54, v18, s6, -v86
	v_add_f32_e32 v47, v80, v47
	v_fmac_f32_e32 v81, 0xbe3c28d5, v26
	v_add_f32_e32 v48, v54, v48
	v_fma_f32 v54, v24, s14, -v87
	v_add_f32_e32 v47, v81, v47
	v_fmac_f32_e32 v82, 0x3f2c7751, v44
	v_add_f32_e32 v48, v54, v48
	v_fma_f32 v54, v16, s0, -v88
	v_add_f32_e32 v47, v82, v47
	v_add_f32_e32 v48, v54, v48
	v_fma_f32 v54, v46, s7, -v89
	v_fmac_f32_e32 v90, 0xbf763a35, v45
	v_add_f32_e32 v54, v54, v48
	v_add_f32_e32 v48, v90, v47
	v_fma_f32 v47, v28, s8, -v91
	v_fmac_f32_e32 v92, 0xbf4c4adb, v15
	v_add_f32_e32 v47, v47, v54
	v_add_f32_e32 v54, v38, v92
	v_fmac_f32_e32 v93, 0x3f763a35, v13
	v_fma_f32 v55, v14, s6, -v99
	v_add_f32_e32 v54, v93, v54
	v_fmac_f32_e32 v94, 0xbeb8f4ab, v19
	v_add_f32_e32 v55, v37, v55
	v_fma_f32 v56, v12, s8, -v100
	v_add_f32_e32 v54, v94, v54
	v_fmac_f32_e32 v95, 0xbf06c442, v20
	v_add_f32_e32 v55, v56, v55
	v_fma_f32 v56, v17, s14, -v101
	v_add_f32_e32 v54, v95, v54
	v_fmac_f32_e32 v96, 0x3f7ee86f, v25
	v_add_f32_e32 v55, v56, v55
	v_fma_f32 v56, v18, s1, -v102
	v_add_f32_e32 v54, v96, v54
	v_fmac_f32_e32 v97, 0xbf2c7751, v26
	v_add_f32_e32 v55, v56, v55
	v_fma_f32 v56, v24, s15, -v103
	v_add_f32_e32 v54, v97, v54
	v_fmac_f32_e32 v98, 0xbe3c28d5, v44
	v_add_f32_e32 v55, v56, v55
	v_fma_f32 v56, v16, s7, -v104
	v_add_f32_e32 v54, v98, v54
	v_add_f32_e32 v55, v56, v55
	v_fma_f32 v56, v46, s0, -v105
	v_fmac_f32_e32 v106, 0x3f65296c, v45
	v_add_f32_e32 v56, v56, v55
	v_add_f32_e32 v55, v106, v54
	v_fma_f32 v54, v28, s9, -v107
	v_fmac_f32_e32 v108, 0xbf763a35, v15
	v_add_f32_e32 v54, v54, v56
	v_add_f32_e32 v56, v38, v108
	v_fmac_f32_e32 v109, 0x3f06c442, v13
	v_fma_f32 v57, v14, s8, -v115
	;; [unrolled: 32-line block ×4, first 2 shown]
	v_add_f32_e32 v60, v141, v60
	v_fmac_f32_e32 v142, 0x3e3c28d5, v19
	v_add_f32_e32 v61, v37, v61
	v_fma_f32 v62, v12, s6, -v148
	v_add_f32_e32 v60, v142, v60
	v_fmac_f32_e32 v143, 0x3f763a35, v20
	v_add_f32_e32 v61, v62, v61
	v_fma_f32 v62, v17, s0, -v149
	;; [unrolled: 4-line block ×5, first 2 shown]
	v_add_f32_e32 v60, v146, v60
	v_add_f32_e32 v61, v62, v61
	v_fma_f32 v62, v46, s15, -v153
	v_fmac_f32_e32 v154, 0xbf06c442, v45
	v_fma_f32 v63, v14, s7, -v163
	v_fma_f32 v14, v14, s14, -v177
	v_add_f32_e32 v62, v62, v61
	v_add_f32_e32 v61, v154, v60
	v_fma_f32 v60, v28, s1, -v155
	v_fmac_f32_e32 v156, 0xbf2c7751, v15
	v_fma_f32 v64, v12, s15, -v164
	v_add_f32_e32 v14, v37, v14
	v_fma_f32 v12, v12, s7, -v178
	v_add_f32_e32 v60, v60, v62
	v_add_f32_e32 v62, v38, v156
	v_fmac_f32_e32 v157, 0xbf7ee86f, v13
	v_fmac_f32_e32 v170, 0xbeb8f4ab, v15
	v_add_f32_e32 v12, v12, v14
	v_fma_f32 v14, v17, s9, -v179
	v_add_f32_e32 v62, v157, v62
	v_fmac_f32_e32 v158, 0xbf4c4adb, v19
	v_add_f32_e32 v63, v37, v63
	v_add_f32_e32 v15, v38, v170
	v_fmac_f32_e32 v173, 0xbf2c7751, v13
	v_add_f32_e32 v12, v14, v12
	v_fma_f32 v14, v18, s15, -v180
	v_add_f32_e32 v62, v158, v62
	v_fmac_f32_e32 v159, 0xbe3c28d5, v20
	v_add_f32_e32 v63, v64, v63
	v_fma_f32 v64, v17, s6, -v165
	;; [unrolled: 4-line block ×9, first 2 shown]
	v_add_f32_e32 v62, v162, v62
	v_add_f32_e32 v63, v64, v63
	v_fma_f32 v64, v46, s9, -v169
	v_fmac_f32_e32 v171, 0x3eb8f4ab, v45
	v_add_f32_e32 v13, v175, v13
	v_fmac_f32_e32 v176, 0xbf06c442, v44
	v_add_f32_e32 v12, v14, v12
	v_mul_u32_u24_e32 v14, 0x88, v36
	v_add_f32_e32 v64, v64, v63
	v_add_f32_e32 v63, v171, v62
	v_fma_f32 v62, v28, s14, -v172
	v_add_f32_e32 v13, v176, v13
	v_fmac_f32_e32 v182, 0xbe3c28d5, v45
	v_add3_u32 v14, 0, v14, v43
	v_add_f32_e32 v62, v62, v64
	v_add_f32_e32 v13, v182, v13
	ds_write2_b64 v14, v[0:1], v[29:30] offset1:1
	ds_write2_b64 v14, v[52:53], v[50:51] offset0:2 offset1:3
	ds_write2_b64 v14, v[10:11], v[8:9] offset0:4 offset1:5
	;; [unrolled: 1-line block ×7, first 2 shown]
	ds_write_b64 v14, v[12:13] offset:128
.LBB0_14:
	s_or_b64 exec, exec, s[4:5]
	v_mov_b32_e32 v37, 0
	v_lshlrev_b64 v[0:1], 3, v[36:37]
	v_mov_b32_e32 v2, s13
	v_add_co_u32_e64 v0, s[0:1], s12, v0
	v_addc_co_u32_e64 v1, s[0:1], v2, v1, s[0:1]
	s_load_dwordx2 s[2:3], s[2:3], 0x0
	s_waitcnt lgkmcnt(0)
	s_barrier
	global_load_dwordx2 v[2:3], v[0:1], off
	ds_read_b64 v[4:5], v42 offset:136
	ds_read_b64 v[6:7], v40
	s_waitcnt vmcnt(0) lgkmcnt(0)
	s_barrier
	v_cmp_ne_u32_e64 s[0:1], 0, v36
	v_mul_f32_e32 v8, v3, v5
	v_mul_f32_e32 v3, v3, v4
	v_fmac_f32_e32 v8, v2, v4
	v_fma_f32 v3, v2, v5, -v3
	v_sub_f32_e32 v2, v6, v8
	v_sub_f32_e32 v3, v7, v3
	v_fma_f32 v4, v6, 2.0, -v2
	v_fma_f32 v5, v7, 2.0, -v3
	ds_write2_b64 v42, v[4:5], v[2:3] offset1:17
	s_waitcnt lgkmcnt(0)
	s_barrier
	ds_read_b64 v[2:3], v40
	v_sub_u32_e32 v4, v39, v41
                                        ; implicit-def: $vgpr6
                                        ; implicit-def: $vgpr5
	s_and_saveexec_b64 s[4:5], s[0:1]
	s_xor_b64 s[0:1], exec, s[4:5]
	s_cbranch_execz .LBB0_16
; %bb.15:
	global_load_dwordx2 v[0:1], v[0:1], off offset:136
	ds_read_b64 v[5:6], v4 offset:272
	s_waitcnt lgkmcnt(0)
	v_add_f32_e32 v7, v5, v2
	v_add_f32_e32 v8, v6, v3
	v_sub_f32_e32 v2, v2, v5
	v_sub_f32_e32 v3, v3, v6
	v_mul_f32_e32 v6, 0.5, v8
	v_mul_f32_e32 v2, 0.5, v2
	;; [unrolled: 1-line block ×3, first 2 shown]
	s_waitcnt vmcnt(0)
	v_mul_f32_e32 v8, v1, v2
	v_fma_f32 v9, v6, v1, v3
	v_fma_f32 v1, v6, v1, -v3
	v_fma_f32 v5, 0.5, v7, v8
	v_fma_f32 v3, -v0, v2, v9
	v_fma_f32 v7, v7, 0.5, -v8
	v_fma_f32 v1, -v0, v2, v1
	v_fmac_f32_e32 v5, v0, v6
	ds_write_b32 v40, v3 offset:4
	v_fma_f32 v6, -v0, v6, v7
	ds_write_b32 v4, v1 offset:276
                                        ; implicit-def: $vgpr2_vgpr3
.LBB0_16:
	s_andn2_saveexec_b64 s[0:1], s[0:1]
	s_cbranch_execz .LBB0_18
; %bb.17:
	v_mov_b32_e32 v0, 0
	ds_write_b32 v40, v0 offset:4
	ds_write_b32 v4, v0 offset:276
	ds_read_b32 v0, v39 offset:140
	s_waitcnt lgkmcnt(3)
	v_add_f32_e32 v5, v2, v3
	v_sub_f32_e32 v6, v2, v3
	s_waitcnt lgkmcnt(0)
	v_xor_b32_e32 v0, 0x80000000, v0
	ds_write_b32 v39, v0 offset:140
.LBB0_18:
	s_or_b64 exec, exec, s[0:1]
	ds_write_b32 v40, v5
	ds_write_b32 v4, v6 offset:272
	s_waitcnt lgkmcnt(0)
	s_barrier
	s_and_saveexec_b64 s[0:1], vcc
	s_cbranch_execz .LBB0_21
; %bb.19:
	v_mul_lo_u32 v2, s3, v34
	v_mul_lo_u32 v3, s2, v35
	v_mad_u64_u32 v[0:1], s[0:1], s2, v34, 0
	v_mov_b32_e32 v7, s11
	v_mov_b32_e32 v37, 0
	v_add3_u32 v1, v1, v3, v2
	v_lshlrev_b64 v[0:1], 3, v[0:1]
	v_lshl_add_u32 v2, v36, 3, v39
	v_add_co_u32_e32 v8, vcc, s10, v0
	v_addc_co_u32_e32 v7, vcc, v7, v1, vcc
	v_lshlrev_b64 v[0:1], 3, v[32:33]
	ds_read2_b64 v[3:6], v2 offset1:17
	v_add_co_u32_e32 v0, vcc, v8, v0
	v_addc_co_u32_e32 v1, vcc, v7, v1, vcc
	v_lshlrev_b64 v[7:8], 3, v[36:37]
	v_add_co_u32_e32 v7, vcc, v0, v7
	v_addc_co_u32_e32 v8, vcc, v1, v8, vcc
	s_waitcnt lgkmcnt(0)
	global_store_dwordx2 v[7:8], v[3:4], off
	v_add_u32_e32 v3, 17, v36
	v_mov_b32_e32 v4, v37
	v_lshlrev_b64 v[3:4], 3, v[3:4]
	v_add_co_u32_e32 v3, vcc, v0, v3
	v_addc_co_u32_e32 v4, vcc, v1, v4, vcc
	v_cmp_eq_u32_e32 vcc, 16, v36
	global_store_dwordx2 v[3:4], v[5:6], off
	s_and_b64 exec, exec, vcc
	s_cbranch_execz .LBB0_21
; %bb.20:
	ds_read_b64 v[2:3], v2 offset:144
	s_waitcnt lgkmcnt(0)
	global_store_dwordx2 v[0:1], v[2:3], off offset:272
.LBB0_21:
	s_endpgm
	.section	.rodata,"a",@progbits
	.p2align	6, 0x0
	.amdhsa_kernel fft_rtc_back_len34_factors_17_2_wgs_255_tpt_17_halfLds_sp_op_CI_CI_unitstride_sbrr_R2C_dirReg
		.amdhsa_group_segment_fixed_size 0
		.amdhsa_private_segment_fixed_size 0
		.amdhsa_kernarg_size 104
		.amdhsa_user_sgpr_count 6
		.amdhsa_user_sgpr_private_segment_buffer 1
		.amdhsa_user_sgpr_dispatch_ptr 0
		.amdhsa_user_sgpr_queue_ptr 0
		.amdhsa_user_sgpr_kernarg_segment_ptr 1
		.amdhsa_user_sgpr_dispatch_id 0
		.amdhsa_user_sgpr_flat_scratch_init 0
		.amdhsa_user_sgpr_private_segment_size 0
		.amdhsa_uses_dynamic_stack 0
		.amdhsa_system_sgpr_private_segment_wavefront_offset 0
		.amdhsa_system_sgpr_workgroup_id_x 1
		.amdhsa_system_sgpr_workgroup_id_y 0
		.amdhsa_system_sgpr_workgroup_id_z 0
		.amdhsa_system_sgpr_workgroup_info 0
		.amdhsa_system_vgpr_workitem_id 0
		.amdhsa_next_free_vgpr 184
		.amdhsa_next_free_sgpr 28
		.amdhsa_reserve_vcc 1
		.amdhsa_reserve_flat_scratch 0
		.amdhsa_float_round_mode_32 0
		.amdhsa_float_round_mode_16_64 0
		.amdhsa_float_denorm_mode_32 3
		.amdhsa_float_denorm_mode_16_64 3
		.amdhsa_dx10_clamp 1
		.amdhsa_ieee_mode 1
		.amdhsa_fp16_overflow 0
		.amdhsa_exception_fp_ieee_invalid_op 0
		.amdhsa_exception_fp_denorm_src 0
		.amdhsa_exception_fp_ieee_div_zero 0
		.amdhsa_exception_fp_ieee_overflow 0
		.amdhsa_exception_fp_ieee_underflow 0
		.amdhsa_exception_fp_ieee_inexact 0
		.amdhsa_exception_int_div_zero 0
	.end_amdhsa_kernel
	.text
.Lfunc_end0:
	.size	fft_rtc_back_len34_factors_17_2_wgs_255_tpt_17_halfLds_sp_op_CI_CI_unitstride_sbrr_R2C_dirReg, .Lfunc_end0-fft_rtc_back_len34_factors_17_2_wgs_255_tpt_17_halfLds_sp_op_CI_CI_unitstride_sbrr_R2C_dirReg
                                        ; -- End function
	.section	.AMDGPU.csdata,"",@progbits
; Kernel info:
; codeLenInByte = 7140
; NumSgprs: 32
; NumVgprs: 184
; ScratchSize: 0
; MemoryBound: 0
; FloatMode: 240
; IeeeMode: 1
; LDSByteSize: 0 bytes/workgroup (compile time only)
; SGPRBlocks: 3
; VGPRBlocks: 45
; NumSGPRsForWavesPerEU: 32
; NumVGPRsForWavesPerEU: 184
; Occupancy: 1
; WaveLimiterHint : 1
; COMPUTE_PGM_RSRC2:SCRATCH_EN: 0
; COMPUTE_PGM_RSRC2:USER_SGPR: 6
; COMPUTE_PGM_RSRC2:TRAP_HANDLER: 0
; COMPUTE_PGM_RSRC2:TGID_X_EN: 1
; COMPUTE_PGM_RSRC2:TGID_Y_EN: 0
; COMPUTE_PGM_RSRC2:TGID_Z_EN: 0
; COMPUTE_PGM_RSRC2:TIDIG_COMP_CNT: 0
	.type	__hip_cuid_9fbaffad633641df,@object ; @__hip_cuid_9fbaffad633641df
	.section	.bss,"aw",@nobits
	.globl	__hip_cuid_9fbaffad633641df
__hip_cuid_9fbaffad633641df:
	.byte	0                               ; 0x0
	.size	__hip_cuid_9fbaffad633641df, 1

	.ident	"AMD clang version 19.0.0git (https://github.com/RadeonOpenCompute/llvm-project roc-6.4.0 25133 c7fe45cf4b819c5991fe208aaa96edf142730f1d)"
	.section	".note.GNU-stack","",@progbits
	.addrsig
	.addrsig_sym __hip_cuid_9fbaffad633641df
	.amdgpu_metadata
---
amdhsa.kernels:
  - .args:
      - .actual_access:  read_only
        .address_space:  global
        .offset:         0
        .size:           8
        .value_kind:     global_buffer
      - .offset:         8
        .size:           8
        .value_kind:     by_value
      - .actual_access:  read_only
        .address_space:  global
        .offset:         16
        .size:           8
        .value_kind:     global_buffer
      - .actual_access:  read_only
        .address_space:  global
        .offset:         24
        .size:           8
        .value_kind:     global_buffer
      - .actual_access:  read_only
        .address_space:  global
        .offset:         32
        .size:           8
        .value_kind:     global_buffer
      - .offset:         40
        .size:           8
        .value_kind:     by_value
      - .actual_access:  read_only
        .address_space:  global
        .offset:         48
        .size:           8
        .value_kind:     global_buffer
      - .actual_access:  read_only
        .address_space:  global
        .offset:         56
        .size:           8
        .value_kind:     global_buffer
      - .offset:         64
        .size:           4
        .value_kind:     by_value
      - .actual_access:  read_only
        .address_space:  global
        .offset:         72
        .size:           8
        .value_kind:     global_buffer
      - .actual_access:  read_only
        .address_space:  global
        .offset:         80
        .size:           8
        .value_kind:     global_buffer
      - .actual_access:  read_only
        .address_space:  global
        .offset:         88
        .size:           8
        .value_kind:     global_buffer
      - .actual_access:  write_only
        .address_space:  global
        .offset:         96
        .size:           8
        .value_kind:     global_buffer
    .group_segment_fixed_size: 0
    .kernarg_segment_align: 8
    .kernarg_segment_size: 104
    .language:       OpenCL C
    .language_version:
      - 2
      - 0
    .max_flat_workgroup_size: 255
    .name:           fft_rtc_back_len34_factors_17_2_wgs_255_tpt_17_halfLds_sp_op_CI_CI_unitstride_sbrr_R2C_dirReg
    .private_segment_fixed_size: 0
    .sgpr_count:     32
    .sgpr_spill_count: 0
    .symbol:         fft_rtc_back_len34_factors_17_2_wgs_255_tpt_17_halfLds_sp_op_CI_CI_unitstride_sbrr_R2C_dirReg.kd
    .uniform_work_group_size: 1
    .uses_dynamic_stack: false
    .vgpr_count:     184
    .vgpr_spill_count: 0
    .wavefront_size: 64
amdhsa.target:   amdgcn-amd-amdhsa--gfx906
amdhsa.version:
  - 1
  - 2
...

	.end_amdgpu_metadata
